;; amdgpu-corpus repo=ROCm/rocFFT kind=compiled arch=gfx906 opt=O3
	.text
	.amdgcn_target "amdgcn-amd-amdhsa--gfx906"
	.amdhsa_code_object_version 6
	.protected	fft_rtc_back_len726_factors_11_6_11_wgs_132_tpt_66_sp_ip_CI_sbrr_dirReg ; -- Begin function fft_rtc_back_len726_factors_11_6_11_wgs_132_tpt_66_sp_ip_CI_sbrr_dirReg
	.globl	fft_rtc_back_len726_factors_11_6_11_wgs_132_tpt_66_sp_ip_CI_sbrr_dirReg
	.p2align	8
	.type	fft_rtc_back_len726_factors_11_6_11_wgs_132_tpt_66_sp_ip_CI_sbrr_dirReg,@function
fft_rtc_back_len726_factors_11_6_11_wgs_132_tpt_66_sp_ip_CI_sbrr_dirReg: ; @fft_rtc_back_len726_factors_11_6_11_wgs_132_tpt_66_sp_ip_CI_sbrr_dirReg
; %bb.0:
	s_load_dwordx2 s[14:15], s[4:5], 0x18
	s_load_dwordx4 s[8:11], s[4:5], 0x0
	s_load_dwordx2 s[12:13], s[4:5], 0x50
	v_mul_u32_u24_e32 v1, 0x3e1, v0
	v_lshrrev_b32_e32 v24, 16, v1
	s_waitcnt lgkmcnt(0)
	s_load_dwordx2 s[2:3], s[14:15], 0x0
	v_cmp_lt_u64_e64 s[0:1], s[10:11], 2
	v_mov_b32_e32 v3, 0
	v_mov_b32_e32 v1, 0
	v_lshl_add_u32 v5, s6, 1, v24
	v_mov_b32_e32 v6, v3
	s_and_b64 vcc, exec, s[0:1]
	v_mov_b32_e32 v2, 0
	s_cbranch_vccnz .LBB0_8
; %bb.1:
	s_load_dwordx2 s[0:1], s[4:5], 0x10
	s_add_u32 s6, s14, 8
	s_addc_u32 s7, s15, 0
	v_mov_b32_e32 v1, 0
	v_mov_b32_e32 v2, 0
	s_waitcnt lgkmcnt(0)
	s_add_u32 s16, s0, 8
	s_addc_u32 s17, s1, 0
	s_mov_b64 s[18:19], 1
.LBB0_2:                                ; =>This Inner Loop Header: Depth=1
	s_load_dwordx2 s[20:21], s[16:17], 0x0
                                        ; implicit-def: $vgpr7_vgpr8
	s_waitcnt lgkmcnt(0)
	v_or_b32_e32 v4, s21, v6
	v_cmp_ne_u64_e32 vcc, 0, v[3:4]
	s_and_saveexec_b64 s[0:1], vcc
	s_xor_b64 s[22:23], exec, s[0:1]
	s_cbranch_execz .LBB0_4
; %bb.3:                                ;   in Loop: Header=BB0_2 Depth=1
	v_cvt_f32_u32_e32 v4, s20
	v_cvt_f32_u32_e32 v7, s21
	s_sub_u32 s0, 0, s20
	s_subb_u32 s1, 0, s21
	v_mac_f32_e32 v4, 0x4f800000, v7
	v_rcp_f32_e32 v4, v4
	v_mul_f32_e32 v4, 0x5f7ffffc, v4
	v_mul_f32_e32 v7, 0x2f800000, v4
	v_trunc_f32_e32 v7, v7
	v_mac_f32_e32 v4, 0xcf800000, v7
	v_cvt_u32_f32_e32 v7, v7
	v_cvt_u32_f32_e32 v4, v4
	v_mul_lo_u32 v8, s0, v7
	v_mul_hi_u32 v9, s0, v4
	v_mul_lo_u32 v11, s1, v4
	v_mul_lo_u32 v10, s0, v4
	v_add_u32_e32 v8, v9, v8
	v_add_u32_e32 v8, v8, v11
	v_mul_hi_u32 v9, v4, v10
	v_mul_lo_u32 v11, v4, v8
	v_mul_hi_u32 v13, v4, v8
	v_mul_hi_u32 v12, v7, v10
	v_mul_lo_u32 v10, v7, v10
	v_mul_hi_u32 v14, v7, v8
	v_add_co_u32_e32 v9, vcc, v9, v11
	v_addc_co_u32_e32 v11, vcc, 0, v13, vcc
	v_mul_lo_u32 v8, v7, v8
	v_add_co_u32_e32 v9, vcc, v9, v10
	v_addc_co_u32_e32 v9, vcc, v11, v12, vcc
	v_addc_co_u32_e32 v10, vcc, 0, v14, vcc
	v_add_co_u32_e32 v8, vcc, v9, v8
	v_addc_co_u32_e32 v9, vcc, 0, v10, vcc
	v_add_co_u32_e32 v4, vcc, v4, v8
	v_addc_co_u32_e32 v7, vcc, v7, v9, vcc
	v_mul_lo_u32 v8, s0, v7
	v_mul_hi_u32 v9, s0, v4
	v_mul_lo_u32 v10, s1, v4
	v_mul_lo_u32 v11, s0, v4
	v_add_u32_e32 v8, v9, v8
	v_add_u32_e32 v8, v8, v10
	v_mul_lo_u32 v12, v4, v8
	v_mul_hi_u32 v13, v4, v11
	v_mul_hi_u32 v14, v4, v8
	v_mul_hi_u32 v10, v7, v11
	v_mul_lo_u32 v11, v7, v11
	v_mul_hi_u32 v9, v7, v8
	v_add_co_u32_e32 v12, vcc, v13, v12
	v_addc_co_u32_e32 v13, vcc, 0, v14, vcc
	v_mul_lo_u32 v8, v7, v8
	v_add_co_u32_e32 v11, vcc, v12, v11
	v_addc_co_u32_e32 v10, vcc, v13, v10, vcc
	v_addc_co_u32_e32 v9, vcc, 0, v9, vcc
	v_add_co_u32_e32 v8, vcc, v10, v8
	v_addc_co_u32_e32 v9, vcc, 0, v9, vcc
	v_add_co_u32_e32 v4, vcc, v4, v8
	v_addc_co_u32_e32 v9, vcc, v7, v9, vcc
	v_mad_u64_u32 v[7:8], s[0:1], v5, v9, 0
	v_mul_hi_u32 v10, v5, v4
	v_add_co_u32_e32 v11, vcc, v10, v7
	v_addc_co_u32_e32 v12, vcc, 0, v8, vcc
	v_mad_u64_u32 v[7:8], s[0:1], v6, v4, 0
	v_mad_u64_u32 v[9:10], s[0:1], v6, v9, 0
	v_add_co_u32_e32 v4, vcc, v11, v7
	v_addc_co_u32_e32 v4, vcc, v12, v8, vcc
	v_addc_co_u32_e32 v7, vcc, 0, v10, vcc
	v_add_co_u32_e32 v4, vcc, v4, v9
	v_addc_co_u32_e32 v9, vcc, 0, v7, vcc
	v_mul_lo_u32 v10, s21, v4
	v_mul_lo_u32 v11, s20, v9
	v_mad_u64_u32 v[7:8], s[0:1], s20, v4, 0
	v_add3_u32 v8, v8, v11, v10
	v_sub_u32_e32 v10, v6, v8
	v_mov_b32_e32 v11, s21
	v_sub_co_u32_e32 v7, vcc, v5, v7
	v_subb_co_u32_e64 v10, s[0:1], v10, v11, vcc
	v_subrev_co_u32_e64 v11, s[0:1], s20, v7
	v_subbrev_co_u32_e64 v10, s[0:1], 0, v10, s[0:1]
	v_cmp_le_u32_e64 s[0:1], s21, v10
	v_cndmask_b32_e64 v12, 0, -1, s[0:1]
	v_cmp_le_u32_e64 s[0:1], s20, v11
	v_cndmask_b32_e64 v11, 0, -1, s[0:1]
	v_cmp_eq_u32_e64 s[0:1], s21, v10
	v_cndmask_b32_e64 v10, v12, v11, s[0:1]
	v_add_co_u32_e64 v11, s[0:1], 2, v4
	v_addc_co_u32_e64 v12, s[0:1], 0, v9, s[0:1]
	v_add_co_u32_e64 v13, s[0:1], 1, v4
	v_addc_co_u32_e64 v14, s[0:1], 0, v9, s[0:1]
	v_subb_co_u32_e32 v8, vcc, v6, v8, vcc
	v_cmp_ne_u32_e64 s[0:1], 0, v10
	v_cmp_le_u32_e32 vcc, s21, v8
	v_cndmask_b32_e64 v10, v14, v12, s[0:1]
	v_cndmask_b32_e64 v12, 0, -1, vcc
	v_cmp_le_u32_e32 vcc, s20, v7
	v_cndmask_b32_e64 v7, 0, -1, vcc
	v_cmp_eq_u32_e32 vcc, s21, v8
	v_cndmask_b32_e32 v7, v12, v7, vcc
	v_cmp_ne_u32_e32 vcc, 0, v7
	v_cndmask_b32_e64 v7, v13, v11, s[0:1]
	v_cndmask_b32_e32 v8, v9, v10, vcc
	v_cndmask_b32_e32 v7, v4, v7, vcc
.LBB0_4:                                ;   in Loop: Header=BB0_2 Depth=1
	s_andn2_saveexec_b64 s[0:1], s[22:23]
	s_cbranch_execz .LBB0_6
; %bb.5:                                ;   in Loop: Header=BB0_2 Depth=1
	v_cvt_f32_u32_e32 v4, s20
	s_sub_i32 s22, 0, s20
	v_rcp_iflag_f32_e32 v4, v4
	v_mul_f32_e32 v4, 0x4f7ffffe, v4
	v_cvt_u32_f32_e32 v4, v4
	v_mul_lo_u32 v7, s22, v4
	v_mul_hi_u32 v7, v4, v7
	v_add_u32_e32 v4, v4, v7
	v_mul_hi_u32 v4, v5, v4
	v_mul_lo_u32 v7, v4, s20
	v_add_u32_e32 v8, 1, v4
	v_sub_u32_e32 v7, v5, v7
	v_subrev_u32_e32 v9, s20, v7
	v_cmp_le_u32_e32 vcc, s20, v7
	v_cndmask_b32_e32 v7, v7, v9, vcc
	v_cndmask_b32_e32 v4, v4, v8, vcc
	v_add_u32_e32 v8, 1, v4
	v_cmp_le_u32_e32 vcc, s20, v7
	v_cndmask_b32_e32 v7, v4, v8, vcc
	v_mov_b32_e32 v8, v3
.LBB0_6:                                ;   in Loop: Header=BB0_2 Depth=1
	s_or_b64 exec, exec, s[0:1]
	v_mul_lo_u32 v4, v8, s20
	v_mul_lo_u32 v11, v7, s21
	v_mad_u64_u32 v[9:10], s[0:1], v7, s20, 0
	s_load_dwordx2 s[0:1], s[6:7], 0x0
	s_add_u32 s18, s18, 1
	v_add3_u32 v4, v10, v11, v4
	v_sub_co_u32_e32 v5, vcc, v5, v9
	v_subb_co_u32_e32 v4, vcc, v6, v4, vcc
	s_waitcnt lgkmcnt(0)
	v_mul_lo_u32 v4, s0, v4
	v_mul_lo_u32 v6, s1, v5
	v_mad_u64_u32 v[1:2], s[0:1], s0, v5, v[1:2]
	s_addc_u32 s19, s19, 0
	s_add_u32 s6, s6, 8
	v_add3_u32 v2, v6, v2, v4
	v_mov_b32_e32 v4, s10
	v_mov_b32_e32 v5, s11
	s_addc_u32 s7, s7, 0
	v_cmp_ge_u64_e32 vcc, s[18:19], v[4:5]
	s_add_u32 s16, s16, 8
	s_addc_u32 s17, s17, 0
	s_cbranch_vccnz .LBB0_9
; %bb.7:                                ;   in Loop: Header=BB0_2 Depth=1
	v_mov_b32_e32 v5, v7
	v_mov_b32_e32 v6, v8
	s_branch .LBB0_2
.LBB0_8:
	v_mov_b32_e32 v8, v6
	v_mov_b32_e32 v7, v5
.LBB0_9:
	s_lshl_b64 s[0:1], s[10:11], 3
	s_add_u32 s0, s14, s0
	s_addc_u32 s1, s15, s1
	s_load_dwordx2 s[6:7], s[0:1], 0x0
	s_load_dwordx2 s[10:11], s[4:5], 0x20
                                        ; implicit-def: $vgpr28
	s_waitcnt lgkmcnt(0)
	v_mad_u64_u32 v[1:2], s[0:1], s6, v7, v[1:2]
	s_mov_b32 s0, 0x3e0f83f
	v_mul_lo_u32 v3, s6, v8
	v_mul_lo_u32 v4, s7, v7
	v_mul_hi_u32 v5, v0, s0
	v_cmp_gt_u64_e32 vcc, s[10:11], v[7:8]
	v_cmp_le_u64_e64 s[0:1], s[10:11], v[7:8]
	v_add3_u32 v2, v4, v2, v3
	v_mul_u32_u24_e32 v3, 0x42, v5
	v_sub_u32_e32 v27, v0, v3
                                        ; implicit-def: $sgpr6_sgpr7
                                        ; implicit-def: $sgpr10
	s_and_saveexec_b64 s[4:5], s[0:1]
	s_xor_b64 s[0:1], exec, s[4:5]
; %bb.10:
	v_add_u32_e32 v28, 0x42, v27
	s_mov_b32 s10, 0
	s_mov_b64 s[6:7], 0
; %bb.11:
	s_or_saveexec_b64 s[4:5], s[0:1]
	v_lshlrev_b64 v[12:13], 3, v[1:2]
	v_mov_b32_e32 v0, s6
	v_mov_b32_e32 v26, s10
	;; [unrolled: 1-line block ×3, first 2 shown]
                                        ; implicit-def: $vgpr21
                                        ; implicit-def: $vgpr17
                                        ; implicit-def: $vgpr11
                                        ; implicit-def: $vgpr7
                                        ; implicit-def: $vgpr3
                                        ; implicit-def: $vgpr23
                                        ; implicit-def: $vgpr19
                                        ; implicit-def: $vgpr15
                                        ; implicit-def: $vgpr9
                                        ; implicit-def: $vgpr5
	s_xor_b64 exec, exec, s[4:5]
	s_cbranch_execz .LBB0_13
; %bb.12:
	v_mad_u64_u32 v[0:1], s[0:1], s2, v27, 0
	v_add_u32_e32 v28, 0x42, v27
	v_mov_b32_e32 v4, s13
	v_mad_u64_u32 v[1:2], s[0:1], s3, v27, v[1:2]
	v_mad_u64_u32 v[2:3], s[0:1], s2, v28, 0
	v_add_co_u32_e64 v8, s[0:1], s12, v12
	v_addc_co_u32_e64 v9, s[0:1], v4, v13, s[0:1]
	v_mad_u64_u32 v[3:4], s[0:1], s3, v28, v[3:4]
	v_add_u32_e32 v6, 0x84, v27
	v_mad_u64_u32 v[4:5], s[0:1], s2, v6, 0
	v_lshlrev_b64 v[0:1], 3, v[0:1]
	v_add_co_u32_e64 v25, s[0:1], v8, v0
	v_addc_co_u32_e64 v26, s[0:1], v9, v1, s[0:1]
	v_lshlrev_b64 v[0:1], 3, v[2:3]
	v_mov_b32_e32 v2, v5
	v_mad_u64_u32 v[2:3], s[0:1], s3, v6, v[2:3]
	v_add_u32_e32 v3, 0xc6, v27
	v_mad_u64_u32 v[6:7], s[0:1], s2, v3, 0
	v_add_co_u32_e64 v29, s[0:1], v8, v0
	v_mov_b32_e32 v5, v2
	v_mov_b32_e32 v2, v7
	v_addc_co_u32_e64 v30, s[0:1], v9, v1, s[0:1]
	v_lshlrev_b64 v[0:1], 3, v[4:5]
	v_mad_u64_u32 v[2:3], s[0:1], s3, v3, v[2:3]
	v_add_u32_e32 v5, 0x108, v27
	v_mad_u64_u32 v[3:4], s[0:1], s2, v5, 0
	v_add_co_u32_e64 v31, s[0:1], v8, v0
	v_mov_b32_e32 v7, v2
	v_mov_b32_e32 v2, v4
	v_addc_co_u32_e64 v32, s[0:1], v9, v1, s[0:1]
	v_lshlrev_b64 v[0:1], 3, v[6:7]
	v_mad_u64_u32 v[4:5], s[0:1], s3, v5, v[2:3]
	v_add_u32_e32 v7, 0x14a, v27
	v_mad_u64_u32 v[5:6], s[0:1], s2, v7, 0
	v_add_co_u32_e64 v33, s[0:1], v8, v0
	v_mov_b32_e32 v2, v6
	v_addc_co_u32_e64 v34, s[0:1], v9, v1, s[0:1]
	v_lshlrev_b64 v[0:1], 3, v[3:4]
	v_mad_u64_u32 v[2:3], s[0:1], s3, v7, v[2:3]
	v_add_u32_e32 v7, 0x18c, v27
	v_mad_u64_u32 v[3:4], s[0:1], s2, v7, 0
	v_add_co_u32_e64 v35, s[0:1], v8, v0
	v_mov_b32_e32 v6, v2
	v_mov_b32_e32 v2, v4
	v_addc_co_u32_e64 v36, s[0:1], v9, v1, s[0:1]
	v_lshlrev_b64 v[0:1], 3, v[5:6]
	v_mad_u64_u32 v[4:5], s[0:1], s3, v7, v[2:3]
	v_add_u32_e32 v7, 0x1ce, v27
	v_mad_u64_u32 v[5:6], s[0:1], s2, v7, 0
	v_add_co_u32_e64 v37, s[0:1], v8, v0
	;; [unrolled: 15-line block ×3, first 2 shown]
	v_mov_b32_e32 v2, v6
	v_addc_co_u32_e64 v42, s[0:1], v9, v1, s[0:1]
	v_lshlrev_b64 v[0:1], 3, v[3:4]
	v_mad_u64_u32 v[2:3], s[0:1], s3, v7, v[2:3]
	v_add_u32_e32 v7, 0x294, v27
	v_mad_u64_u32 v[3:4], s[0:1], s2, v7, 0
	v_add_co_u32_e64 v43, s[0:1], v8, v0
	v_mov_b32_e32 v6, v2
	v_mov_b32_e32 v2, v4
	v_addc_co_u32_e64 v44, s[0:1], v9, v1, s[0:1]
	v_lshlrev_b64 v[0:1], 3, v[5:6]
	v_mad_u64_u32 v[4:5], s[0:1], s3, v7, v[2:3]
	v_add_co_u32_e64 v45, s[0:1], v8, v0
	v_addc_co_u32_e64 v46, s[0:1], v9, v1, s[0:1]
	v_lshlrev_b64 v[0:1], 3, v[3:4]
	v_add_co_u32_e64 v47, s[0:1], v8, v0
	v_addc_co_u32_e64 v48, s[0:1], v9, v1, s[0:1]
	global_load_dwordx2 v[0:1], v[25:26], off
	global_load_dwordx2 v[20:21], v[29:30], off
	;; [unrolled: 1-line block ×11, first 2 shown]
	v_mov_b32_e32 v26, v27
.LBB0_13:
	s_or_b64 exec, exec, s[4:5]
	s_waitcnt vmcnt(9)
	v_add_f32_e32 v25, v20, v0
	v_add_f32_e32 v29, v21, v1
	s_waitcnt vmcnt(8)
	v_add_f32_e32 v25, v16, v25
	v_add_f32_e32 v29, v17, v29
	;; [unrolled: 3-line block ×8, first 2 shown]
	s_waitcnt vmcnt(1)
	v_add_f32_e32 v25, v18, v25
	s_waitcnt vmcnt(0)
	v_add_f32_e32 v31, v21, v23
	v_sub_f32_e32 v21, v21, v23
	v_add_f32_e32 v30, v19, v29
	v_add_f32_e32 v29, v22, v25
	;; [unrolled: 1-line block ×3, first 2 shown]
	v_sub_f32_e32 v20, v20, v22
	v_add_f32_e32 v22, v17, v19
	v_sub_f32_e32 v19, v17, v19
	v_add_f32_e32 v36, v2, v4
	v_sub_f32_e32 v38, v2, v4
	v_mul_f32_e32 v4, 0xbf0a6770, v21
	v_add_f32_e32 v37, v3, v5
	v_sub_f32_e32 v39, v3, v5
	v_mov_b32_e32 v2, v4
	v_mul_f32_e32 v5, 0xbf68dda4, v19
	v_add_f32_e32 v30, v23, v30
	v_add_f32_e32 v23, v16, v18
	v_fmac_f32_e32 v2, 0x3f575c64, v25
	v_mov_b32_e32 v3, v5
	v_sub_f32_e32 v18, v16, v18
	v_add_f32_e32 v34, v6, v8
	v_sub_f32_e32 v8, v6, v8
	v_add_f32_e32 v2, v2, v0
	v_fmac_f32_e32 v3, 0x3ed4b147, v23
	s_mov_b32 s5, 0x3f575c64
	v_mul_f32_e32 v6, 0xbf0a6770, v20
	v_add_f32_e32 v35, v7, v9
	v_sub_f32_e32 v9, v7, v9
	v_add_f32_e32 v2, v3, v2
	v_fma_f32 v3, v31, s5, -v6
	s_mov_b32 s4, 0x3ed4b147
	v_mul_f32_e32 v7, 0xbf68dda4, v18
	v_add_f32_e32 v32, v10, v14
	v_add_f32_e32 v33, v11, v15
	v_sub_f32_e32 v10, v10, v14
	v_sub_f32_e32 v11, v11, v15
	v_add_f32_e32 v3, v3, v1
	v_fma_f32 v14, v22, s4, -v7
	v_add_f32_e32 v3, v14, v3
	v_mul_f32_e32 v14, 0xbf7d64f0, v11
	v_mov_b32_e32 v15, v14
	v_fmac_f32_e32 v15, 0xbe11bafb, v32
	v_add_f32_e32 v2, v15, v2
	s_mov_b32 s6, 0xbe11bafb
	v_mul_f32_e32 v15, 0xbf7d64f0, v10
	v_fma_f32 v16, v33, s6, -v15
	v_add_f32_e32 v3, v16, v3
	v_mul_f32_e32 v16, 0xbf4178ce, v9
	v_mov_b32_e32 v17, v16
	v_fmac_f32_e32 v17, 0xbf27a4f4, v34
	v_add_f32_e32 v2, v17, v2
	s_mov_b32 s7, 0xbf27a4f4
	v_mul_f32_e32 v17, 0xbf4178ce, v8
	v_fma_f32 v40, v35, s7, -v17
	v_add_f32_e32 v3, v40, v3
	v_mul_f32_e32 v40, 0xbe903f40, v39
	v_mov_b32_e32 v41, v40
	v_fmac_f32_e32 v41, 0xbf75a155, v36
	s_mov_b32 s10, 0xbf75a155
	v_add_f32_e32 v2, v41, v2
	v_mul_f32_e32 v41, 0xbe903f40, v38
	v_fma_f32 v42, v37, s10, -v41
	v_and_b32_e32 v24, 1, v24
	v_add_f32_e32 v3, v42, v3
	v_mov_b32_e32 v42, 0x2d6
	v_cmp_eq_u32_e64 s[0:1], 1, v24
	v_cndmask_b32_e64 v42, 0, v42, s[0:1]
	s_movk_i32 s0, 0x58
	v_lshl_add_u32 v24, v42, 3, 0
	v_mad_u32_u24 v43, v27, s0, v24
	ds_write2_b64 v43, v[29:30], v[2:3] offset1:1
	v_mul_f32_e32 v3, 0xbf68dda4, v21
	v_mul_f32_e32 v29, 0xbf7d64f0, v21
	v_mul_f32_e32 v44, 0xbf4178ce, v21
	v_mul_f32_e32 v21, 0xbe903f40, v21
	v_fma_f32 v2, v25, s5, -v4
	v_mov_b32_e32 v4, v3
	v_mov_b32_e32 v30, v29
	v_mov_b32_e32 v45, v44
	v_mov_b32_e32 v46, v21
	v_fmac_f32_e32 v4, 0x3ed4b147, v25
	v_fma_f32 v3, v25, s4, -v3
	v_fmac_f32_e32 v30, 0xbe11bafb, v25
	v_fma_f32 v29, v25, s6, -v29
	;; [unrolled: 2-line block ×4, first 2 shown]
	v_mul_f32_e32 v25, 0xbf68dda4, v20
	v_fma_f32 v47, v31, s4, -v25
	v_mul_f32_e32 v48, 0xbf7d64f0, v20
	v_mul_f32_e32 v50, 0xbf4178ce, v20
	;; [unrolled: 1-line block ×3, first 2 shown]
	v_fmac_f32_e32 v6, 0x3f575c64, v31
	v_fmac_f32_e32 v25, 0x3ed4b147, v31
	v_fma_f32 v49, v31, s6, -v48
	v_fmac_f32_e32 v48, 0xbe11bafb, v31
	v_fma_f32 v51, v31, s7, -v50
	;; [unrolled: 2-line block ×3, first 2 shown]
	v_fmac_f32_e32 v20, 0xbf75a155, v31
	v_add_f32_e32 v2, v2, v0
	v_add_f32_e32 v4, v4, v0
	;; [unrolled: 1-line block ×10, first 2 shown]
	v_fma_f32 v0, v23, s4, -v5
	v_add_f32_e32 v0, v0, v2
	v_fma_f32 v2, v32, s6, -v14
	v_add_f32_e32 v0, v2, v0
	v_fma_f32 v2, v34, s7, -v16
	v_add_f32_e32 v6, v6, v1
	v_fmac_f32_e32 v7, 0x3ed4b147, v22
	v_add_f32_e32 v0, v2, v0
	v_fma_f32 v2, v36, s10, -v40
	v_mul_f32_e32 v5, 0xbf4178ce, v19
	v_add_f32_e32 v25, v25, v1
	v_add_f32_e32 v49, v49, v1
	;; [unrolled: 1-line block ×9, first 2 shown]
	v_mov_b32_e32 v2, v5
	v_mul_f32_e32 v6, 0x3e903f40, v11
	v_fmac_f32_e32 v2, 0xbf27a4f4, v23
	v_mov_b32_e32 v7, v6
	v_add_f32_e32 v2, v2, v4
	v_mul_f32_e32 v4, 0xbf4178ce, v18
	v_fmac_f32_e32 v7, 0xbf75a155, v32
	v_fma_f32 v3, v22, s7, -v4
	v_add_f32_e32 v2, v7, v2
	v_mul_f32_e32 v7, 0x3e903f40, v10
	v_add_f32_e32 v3, v3, v31
	v_fma_f32 v14, v33, s10, -v7
	v_fmac_f32_e32 v15, 0xbe11bafb, v33
	v_add_f32_e32 v3, v14, v3
	v_mul_f32_e32 v14, 0x3f7d64f0, v9
	v_add_f32_e32 v1, v15, v1
	v_mov_b32_e32 v15, v14
	v_fmac_f32_e32 v15, 0xbe11bafb, v34
	v_add_f32_e32 v2, v15, v2
	v_mul_f32_e32 v15, 0x3f7d64f0, v8
	v_fma_f32 v16, v35, s6, -v15
	v_fmac_f32_e32 v17, 0xbf27a4f4, v35
	v_add_f32_e32 v3, v16, v3
	v_mul_f32_e32 v16, 0x3f0a6770, v39
	v_fma_f32 v5, v23, s7, -v5
	v_add_f32_e32 v1, v17, v1
	v_mov_b32_e32 v17, v16
	v_add_f32_e32 v5, v5, v47
	v_fmac_f32_e32 v4, 0xbf27a4f4, v22
	v_fma_f32 v6, v32, s10, -v6
	v_fmac_f32_e32 v17, 0x3f575c64, v36
	v_add_f32_e32 v4, v4, v25
	v_add_f32_e32 v5, v6, v5
	v_fmac_f32_e32 v7, 0xbf75a155, v33
	v_fma_f32 v6, v34, s6, -v14
	v_add_f32_e32 v2, v17, v2
	v_mul_f32_e32 v17, 0x3f0a6770, v38
	v_add_f32_e32 v4, v7, v4
	v_add_f32_e32 v5, v6, v5
	v_fmac_f32_e32 v15, 0xbe11bafb, v35
	v_fma_f32 v6, v36, s5, -v16
	v_fma_f32 v20, v37, s5, -v17
	v_add_f32_e32 v4, v15, v4
	v_add_f32_e32 v14, v6, v5
	v_fmac_f32_e32 v17, 0x3f575c64, v37
	v_mul_f32_e32 v6, 0x3e903f40, v19
	v_add_f32_e32 v15, v17, v4
	v_mov_b32_e32 v4, v6
	v_mul_f32_e32 v16, 0x3f68dda4, v11
	v_fmac_f32_e32 v4, 0xbf75a155, v23
	v_mov_b32_e32 v17, v16
	v_add_f32_e32 v4, v4, v30
	v_mul_f32_e32 v7, 0x3e903f40, v18
	v_fmac_f32_e32 v17, 0x3ed4b147, v32
	v_fma_f32 v5, v22, s10, -v7
	v_add_f32_e32 v4, v17, v4
	v_mul_f32_e32 v17, 0x3f68dda4, v10
	v_add_f32_e32 v3, v20, v3
	v_add_f32_e32 v5, v5, v49
	v_fma_f32 v20, v33, s4, -v17
	v_add_f32_e32 v5, v20, v5
	v_mul_f32_e32 v20, 0xbf0a6770, v9
	v_mov_b32_e32 v21, v20
	v_fmac_f32_e32 v21, 0x3f575c64, v34
	v_add_f32_e32 v4, v21, v4
	v_mul_f32_e32 v21, 0xbf0a6770, v8
	v_fma_f32 v6, v23, s10, -v6
	v_fma_f32 v25, v35, s5, -v21
	v_add_f32_e32 v6, v6, v29
	v_fma_f32 v16, v32, s4, -v16
	v_add_f32_e32 v5, v25, v5
	v_mul_f32_e32 v25, 0xbf4178ce, v39
	v_add_f32_e32 v6, v16, v6
	v_fma_f32 v16, v34, s5, -v20
	v_mov_b32_e32 v30, v25
	v_fmac_f32_e32 v7, 0xbf75a155, v22
	v_add_f32_e32 v6, v16, v6
	v_fma_f32 v16, v36, s7, -v25
	v_mul_f32_e32 v20, 0x3f7d64f0, v19
	v_fmac_f32_e32 v30, 0xbf27a4f4, v36
	v_add_f32_e32 v7, v7, v48
	v_fmac_f32_e32 v17, 0x3ed4b147, v33
	v_add_f32_e32 v16, v16, v6
	v_mov_b32_e32 v6, v20
	v_mul_f32_e32 v25, 0xbf0a6770, v11
	v_add_f32_e32 v4, v30, v4
	v_mul_f32_e32 v30, 0xbf4178ce, v38
	v_add_f32_e32 v7, v17, v7
	v_fmac_f32_e32 v21, 0x3f575c64, v35
	v_fmac_f32_e32 v6, 0xbe11bafb, v23
	v_mov_b32_e32 v29, v25
	v_fma_f32 v31, v37, s7, -v30
	v_add_f32_e32 v7, v21, v7
	v_fmac_f32_e32 v30, 0xbf27a4f4, v37
	v_add_f32_e32 v6, v6, v45
	v_mul_f32_e32 v21, 0x3f7d64f0, v18
	v_fmac_f32_e32 v29, 0x3f575c64, v32
	v_add_f32_e32 v17, v30, v7
	v_fma_f32 v7, v22, s6, -v21
	v_add_f32_e32 v6, v29, v6
	v_mul_f32_e32 v29, 0xbf0a6770, v10
	v_add_f32_e32 v7, v7, v51
	v_fma_f32 v30, v33, s5, -v29
	v_add_f32_e32 v7, v30, v7
	v_mul_f32_e32 v30, 0xbe903f40, v9
	v_add_f32_e32 v5, v31, v5
	v_mov_b32_e32 v31, v30
	v_fmac_f32_e32 v31, 0xbf75a155, v34
	v_add_f32_e32 v6, v31, v6
	v_mul_f32_e32 v31, 0xbe903f40, v8
	v_fma_f32 v20, v23, s6, -v20
	v_fma_f32 v40, v35, s10, -v31
	v_add_f32_e32 v20, v20, v44
	v_fma_f32 v25, v32, s5, -v25
	v_add_f32_e32 v7, v40, v7
	v_mul_f32_e32 v40, 0x3f68dda4, v39
	v_add_f32_e32 v20, v25, v20
	v_fma_f32 v25, v34, s10, -v30
	v_add_f32_e32 v20, v25, v20
	v_fma_f32 v25, v36, s4, -v40
	v_mul_f32_e32 v19, 0x3f0a6770, v19
	v_fmac_f32_e32 v21, 0xbe11bafb, v22
	v_add_f32_e32 v20, v25, v20
	v_mov_b32_e32 v25, v19
	v_mul_f32_e32 v11, 0xbf4178ce, v11
	v_add_f32_e32 v21, v21, v50
	v_fmac_f32_e32 v29, 0x3f575c64, v33
	v_fmac_f32_e32 v25, 0x3f575c64, v23
	v_mul_f32_e32 v18, 0x3f0a6770, v18
	v_mov_b32_e32 v30, v11
	v_add_f32_e32 v21, v29, v21
	v_add_f32_e32 v25, v25, v46
	v_fma_f32 v29, v22, s5, -v18
	v_fmac_f32_e32 v30, 0xbf27a4f4, v32
	v_mul_f32_e32 v10, 0xbf4178ce, v10
	v_add_f32_e32 v29, v29, v52
	v_add_f32_e32 v25, v30, v25
	v_fma_f32 v30, v33, s7, -v10
	v_add_f32_e32 v29, v30, v29
	v_mul_f32_e32 v30, 0x3f68dda4, v9
	v_mov_b32_e32 v9, v30
	v_fmac_f32_e32 v9, 0x3ed4b147, v34
	v_fmac_f32_e32 v41, 0xbf75a155, v37
	;; [unrolled: 1-line block ×3, first 2 shown]
	v_add_f32_e32 v9, v9, v25
	v_mul_f32_e32 v25, 0x3f68dda4, v8
	v_add_f32_e32 v1, v41, v1
	v_mov_b32_e32 v41, v40
	v_add_f32_e32 v21, v31, v21
	v_fma_f32 v8, v35, s4, -v25
	v_mul_f32_e32 v31, 0xbf7d64f0, v39
	v_fmac_f32_e32 v41, 0x3ed4b147, v36
	v_add_f32_e32 v29, v8, v29
	v_mov_b32_e32 v8, v31
	v_fma_f32 v19, v23, s5, -v19
	v_fmac_f32_e32 v18, 0x3f575c64, v22
	v_add_f32_e32 v6, v41, v6
	v_mul_f32_e32 v41, 0x3f68dda4, v38
	v_fmac_f32_e32 v8, 0xbe11bafb, v36
	v_mul_f32_e32 v38, 0xbf7d64f0, v38
	v_add_f32_e32 v19, v19, v53
	v_add_f32_e32 v18, v18, v54
	v_fma_f32 v11, v32, s7, -v11
	v_fmac_f32_e32 v10, 0xbf27a4f4, v33
	v_add_f32_e32 v8, v8, v9
	v_fma_f32 v9, v37, s6, -v38
	v_add_f32_e32 v11, v11, v19
	v_add_f32_e32 v10, v10, v18
	v_fma_f32 v18, v34, s4, -v30
	v_fmac_f32_e32 v25, 0x3ed4b147, v35
	s_movk_i32 s0, 0xffb0
	v_fma_f32 v45, v37, s4, -v41
	v_fmac_f32_e32 v41, 0x3ed4b147, v37
	v_add_f32_e32 v9, v9, v29
	v_add_f32_e32 v11, v18, v11
	;; [unrolled: 1-line block ×3, first 2 shown]
	v_fma_f32 v18, v36, s6, -v31
	v_fmac_f32_e32 v38, 0xbe11bafb, v37
	v_mad_i32_i24 v29, v27, s0, v43
	v_add_f32_e32 v7, v45, v7
	v_add_f32_e32 v21, v41, v21
	;; [unrolled: 1-line block ×4, first 2 shown]
	ds_write2_b64 v43, v[2:3], v[4:5] offset0:2 offset1:3
	ds_write2_b64 v43, v[6:7], v[8:9] offset0:4 offset1:5
	ds_write2_b64 v43, v[18:19], v[20:21] offset0:6 offset1:7
	ds_write2_b64 v43, v[16:17], v[14:15] offset0:8 offset1:9
	ds_write_b64 v43, v[0:1] offset:80
	v_add_u32_e32 v2, 0x800, v29
	s_waitcnt lgkmcnt(0)
	s_barrier
	v_lshl_add_u32 v30, v27, 3, v24
	ds_read2_b64 v[4:7], v29 offset0:121 offset1:242
	ds_read2_b64 v[8:11], v2 offset0:107 offset1:228
	ds_read_b64 v[22:23], v30
	ds_read_b64 v[24:25], v29 offset:4840
	v_cmp_gt_u32_e64 s[0:1], 55, v27
	v_lshlrev_b32_e32 v31, 3, v28
	v_lshlrev_b32_e32 v32, 3, v42
	s_and_saveexec_b64 s[4:5], s[0:1]
	s_cbranch_execz .LBB0_15
; %bb.14:
	v_add3_u32 v0, 0, v31, v32
	ds_read_b64 v[18:19], v0
	v_add_u32_e32 v0, 0x400, v29
	ds_read2_b64 v[33:36], v0 offset0:59 offset1:180
	v_add_u32_e32 v0, 0xc00, v29
	ds_read2_b32 v[14:15], v0 offset0:90 offset1:91
	v_add_u32_e32 v0, 0x1000, v29
	ds_read2_b64 v[0:3], v0 offset0:38 offset1:159
	s_waitcnt lgkmcnt(2)
	v_mov_b32_e32 v17, v36
	v_mov_b32_e32 v16, v35
	v_mov_b32_e32 v21, v34
	v_mov_b32_e32 v20, v33
.LBB0_15:
	s_or_b64 exec, exec, s[4:5]
	s_movk_i32 s6, 0x75
	v_mul_lo_u16_sdwa v33, v27, s6 dst_sel:DWORD dst_unused:UNUSED_PAD src0_sel:BYTE_0 src1_sel:DWORD
	v_sub_u16_sdwa v34, v27, v33 dst_sel:DWORD dst_unused:UNUSED_PAD src0_sel:DWORD src1_sel:BYTE_1
	v_lshrrev_b16_e32 v34, 1, v34
	v_and_b32_e32 v34, 0x7f, v34
	v_add_u16_sdwa v33, v34, v33 dst_sel:DWORD dst_unused:UNUSED_PAD src0_sel:DWORD src1_sel:BYTE_1
	v_lshrrev_b16_e32 v45, 3, v33
	v_mul_lo_u16_e32 v33, 11, v45
	v_sub_u16_e32 v46, v27, v33
	v_mov_b32_e32 v33, 5
	v_mul_u32_u24_sdwa v34, v46, v33 dst_sel:DWORD dst_unused:UNUSED_PAD src0_sel:BYTE_0 src1_sel:DWORD
	v_lshlrev_b32_e32 v34, 3, v34
	global_load_dwordx4 v[35:38], v34, s[8:9]
	global_load_dwordx4 v[39:42], v34, s[8:9] offset:16
	global_load_dwordx2 v[43:44], v34, s[8:9] offset:32
	s_movk_i32 s7, 0x210
	v_mov_b32_e32 v34, 3
	v_mad_u32_u24 v45, v45, s7, 0
	v_lshlrev_b32_sdwa v46, v34, v46 dst_sel:DWORD dst_unused:UNUSED_PAD src0_sel:DWORD src1_sel:BYTE_0
	v_add3_u32 v45, v45, v46, v32
	s_waitcnt vmcnt(0) lgkmcnt(0)
	s_barrier
	v_mul_f32_e32 v46, v36, v5
	v_mul_f32_e32 v36, v36, v4
	;; [unrolled: 1-line block ×10, first 2 shown]
	v_fmac_f32_e32 v46, v35, v4
	v_fma_f32 v35, v35, v5, -v36
	v_fmac_f32_e32 v47, v37, v6
	v_fma_f32 v4, v37, v7, -v38
	v_fma_f32 v5, v39, v9, -v40
	v_fmac_f32_e32 v49, v41, v10
	v_fma_f32 v6, v41, v11, -v42
	v_fma_f32 v7, v43, v25, -v44
	v_fmac_f32_e32 v48, v39, v8
	v_fmac_f32_e32 v50, v43, v24
	v_add_f32_e32 v9, v47, v49
	v_sub_f32_e32 v10, v4, v6
	v_add_f32_e32 v11, v23, v4
	v_add_f32_e32 v4, v4, v6
	v_sub_f32_e32 v37, v5, v7
	v_add_f32_e32 v38, v35, v5
	v_add_f32_e32 v5, v5, v7
	;; [unrolled: 1-line block ×5, first 2 shown]
	v_sub_f32_e32 v39, v48, v50
	v_fma_f32 v22, -0.5, v9, v22
	v_fmac_f32_e32 v23, -0.5, v4
	v_fmac_f32_e32 v35, -0.5, v5
	v_sub_f32_e32 v24, v47, v49
	v_add_f32_e32 v9, v11, v6
	v_add_f32_e32 v6, v25, v50
	v_fmac_f32_e32 v46, -0.5, v36
	v_add_f32_e32 v7, v38, v7
	v_mov_b32_e32 v25, v22
	v_mov_b32_e32 v36, v23
	;; [unrolled: 1-line block ×3, first 2 shown]
	v_fmac_f32_e32 v35, 0xbf5db3d7, v39
	v_fmac_f32_e32 v22, 0x3f5db3d7, v10
	;; [unrolled: 1-line block ×3, first 2 shown]
	v_mov_b32_e32 v11, v46
	v_fmac_f32_e32 v46, 0x3f5db3d7, v37
	v_fmac_f32_e32 v25, 0xbf5db3d7, v10
	;; [unrolled: 1-line block ×4, first 2 shown]
	v_mul_f32_e32 v10, 0xbf5db3d7, v35
	v_mul_f32_e32 v24, -0.5, v35
	v_add_f32_e32 v8, v8, v49
	v_fmac_f32_e32 v11, 0xbf5db3d7, v37
	v_mul_f32_e32 v35, 0xbf5db3d7, v38
	v_fmac_f32_e32 v10, -0.5, v46
	v_mul_f32_e32 v37, 0.5, v38
	v_fmac_f32_e32 v24, 0x3f5db3d7, v46
	v_add_f32_e32 v4, v8, v6
	v_add_f32_e32 v5, v9, v7
	v_sub_f32_e32 v6, v8, v6
	v_sub_f32_e32 v7, v9, v7
	v_fmac_f32_e32 v35, 0.5, v11
	v_add_f32_e32 v8, v22, v10
	v_fmac_f32_e32 v37, 0x3f5db3d7, v11
	v_add_f32_e32 v9, v23, v24
	v_sub_f32_e32 v10, v22, v10
	v_sub_f32_e32 v11, v23, v24
	v_add_f32_e32 v22, v25, v35
	v_add_f32_e32 v23, v36, v37
	v_sub_f32_e32 v24, v25, v35
	v_sub_f32_e32 v25, v36, v37
	ds_write2_b64 v45, v[8:9], v[6:7] offset0:22 offset1:33
	ds_write2_b64 v45, v[4:5], v[22:23] offset1:11
	ds_write2_b64 v45, v[24:25], v[10:11] offset0:44 offset1:55
	s_and_saveexec_b64 s[4:5], s[0:1]
	s_cbranch_execz .LBB0_17
; %bb.16:
	v_mul_lo_u16_sdwa v4, v28, s6 dst_sel:DWORD dst_unused:UNUSED_PAD src0_sel:BYTE_0 src1_sel:DWORD
	v_sub_u16_sdwa v5, v28, v4 dst_sel:DWORD dst_unused:UNUSED_PAD src0_sel:DWORD src1_sel:BYTE_1
	v_lshrrev_b16_e32 v5, 1, v5
	v_and_b32_e32 v5, 0x7f, v5
	v_add_u16_sdwa v4, v5, v4 dst_sel:DWORD dst_unused:UNUSED_PAD src0_sel:DWORD src1_sel:BYTE_1
	v_lshrrev_b16_e32 v24, 3, v4
	v_mul_lo_u16_e32 v4, 11, v24
	v_sub_u16_e32 v25, v28, v4
	v_mul_u32_u24_sdwa v4, v25, v33 dst_sel:DWORD dst_unused:UNUSED_PAD src0_sel:BYTE_0 src1_sel:DWORD
	v_lshlrev_b32_e32 v28, 3, v4
	global_load_dwordx4 v[4:7], v28, s[8:9]
	global_load_dwordx4 v[8:11], v28, s[8:9] offset:16
	global_load_dwordx2 v[22:23], v28, s[8:9] offset:32
	v_mad_u32_u24 v24, v24, s7, 0
	v_lshlrev_b32_sdwa v25, v34, v25 dst_sel:DWORD dst_unused:UNUSED_PAD src0_sel:DWORD src1_sel:BYTE_0
	v_add3_u32 v24, v24, v25, v32
	s_waitcnt vmcnt(2)
	v_mul_f32_e32 v25, v16, v7
	s_waitcnt vmcnt(1)
	v_mul_f32_e32 v28, v0, v11
	v_mul_f32_e32 v11, v1, v11
	;; [unrolled: 1-line block ×3, first 2 shown]
	s_waitcnt vmcnt(0)
	v_mul_f32_e32 v35, v3, v23
	v_mul_f32_e32 v9, v14, v9
	;; [unrolled: 1-line block ×6, first 2 shown]
	v_fma_f32 v17, v17, v6, -v25
	v_fma_f32 v1, v1, v10, -v28
	v_fmac_f32_e32 v11, v0, v10
	v_fmac_f32_e32 v34, v14, v8
	;; [unrolled: 1-line block ×3, first 2 shown]
	v_fma_f32 v0, v15, v8, -v9
	v_fma_f32 v2, v3, v22, -v23
	v_fmac_f32_e32 v7, v16, v6
	v_fmac_f32_e32 v33, v20, v4
	v_fma_f32 v3, v21, v4, -v5
	v_add_f32_e32 v4, v17, v1
	v_add_f32_e32 v6, v34, v35
	;; [unrolled: 1-line block ×3, first 2 shown]
	v_sub_f32_e32 v5, v7, v11
	v_sub_f32_e32 v8, v0, v2
	;; [unrolled: 1-line block ×3, first 2 shown]
	v_add_f32_e32 v14, v19, v17
	v_add_f32_e32 v0, v3, v0
	;; [unrolled: 1-line block ×3, first 2 shown]
	v_sub_f32_e32 v16, v17, v1
	v_add_f32_e32 v7, v18, v7
	v_add_f32_e32 v17, v33, v34
	v_fma_f32 v19, -0.5, v4, v19
	v_fma_f32 v4, -0.5, v6, v33
	;; [unrolled: 1-line block ×3, first 2 shown]
	v_add_f32_e32 v3, v14, v1
	v_add_f32_e32 v2, v0, v2
	v_fma_f32 v9, -0.5, v15, v18
	v_add_f32_e32 v7, v7, v11
	v_add_f32_e32 v11, v17, v35
	v_mov_b32_e32 v17, v6
	v_fmac_f32_e32 v6, 0x3f5db3d7, v10
	v_mov_b32_e32 v15, v4
	v_fmac_f32_e32 v4, 0xbf5db3d7, v8
	v_sub_f32_e32 v1, v3, v2
	v_mov_b32_e32 v18, v9
	v_sub_f32_e32 v0, v7, v11
	v_add_f32_e32 v3, v3, v2
	v_add_f32_e32 v2, v7, v11
	v_fmac_f32_e32 v17, 0xbf5db3d7, v10
	v_mul_f32_e32 v7, 0.5, v6
	v_mul_f32_e32 v6, 0xbf5db3d7, v6
	v_mov_b32_e32 v14, v19
	v_fmac_f32_e32 v19, 0x3f5db3d7, v5
	v_fmac_f32_e32 v9, 0xbf5db3d7, v16
	;; [unrolled: 1-line block ×4, first 2 shown]
	v_mul_f32_e32 v10, -0.5, v17
	v_fmac_f32_e32 v7, 0x3f5db3d7, v4
	v_mul_f32_e32 v16, 0xbf5db3d7, v17
	v_fmac_f32_e32 v6, 0.5, v4
	v_fmac_f32_e32 v14, 0xbf5db3d7, v5
	v_fmac_f32_e32 v10, 0x3f5db3d7, v15
	v_sub_f32_e32 v5, v19, v7
	v_fmac_f32_e32 v16, -0.5, v15
	v_sub_f32_e32 v4, v9, v6
	v_add_f32_e32 v7, v19, v7
	v_add_f32_e32 v6, v9, v6
	v_sub_f32_e32 v9, v14, v10
	v_sub_f32_e32 v8, v18, v16
	v_add_f32_e32 v11, v14, v10
	v_add_f32_e32 v10, v18, v16
	ds_write2_b64 v24, v[2:3], v[6:7] offset1:11
	ds_write2_b64 v24, v[10:11], v[0:1] offset0:22 offset1:33
	ds_write2_b64 v24, v[4:5], v[8:9] offset0:44 offset1:55
.LBB0_17:
	s_or_b64 exec, exec, s[4:5]
	s_waitcnt lgkmcnt(0)
	s_barrier
	s_and_saveexec_b64 s[0:1], vcc
	s_cbranch_execz .LBB0_19
; %bb.18:
	v_mul_u32_u24_e32 v0, 10, v27
	v_lshlrev_b32_e32 v22, 3, v0
	global_load_dwordx4 v[0:3], v22, s[8:9] offset:504
	global_load_dwordx4 v[4:7], v22, s[8:9] offset:440
	;; [unrolled: 1-line block ×5, first 2 shown]
	ds_read2_b64 v[22:25], v29 offset0:132 offset1:198
	v_add3_u32 v27, 0, v31, v32
	v_add_u32_e32 v28, 0x1000, v29
	v_add_u32_e32 v43, 0x800, v29
	ds_read_b64 v[35:36], v30
	ds_read_b64 v[37:38], v29 offset:5280
	ds_read_b64 v[39:40], v29 offset:2112
	ds_read_b64 v[41:42], v27
	ds_read2_b64 v[27:30], v28 offset0:16 offset1:82
	ds_read2_b64 v[31:34], v43 offset0:140 offset1:206
	ds_read2_b32 v[43:44], v43 offset0:148 offset1:149
	s_mov_b32 s4, 0xbf75a155
	s_mov_b32 s0, 0x3f575c64
	;; [unrolled: 1-line block ×5, first 2 shown]
	s_waitcnt vmcnt(4) lgkmcnt(5)
	v_mul_f32_e32 v45, v3, v37
	s_waitcnt vmcnt(3) lgkmcnt(3)
	v_mul_f32_e32 v46, v5, v41
	v_mul_f32_e32 v49, v7, v23
	;; [unrolled: 1-line block ×4, first 2 shown]
	s_waitcnt lgkmcnt(2)
	v_mul_f32_e32 v5, v1, v29
	v_mul_f32_e32 v48, v7, v22
	s_waitcnt vmcnt(2)
	v_mul_f32_e32 v7, v11, v27
	v_mul_f32_e32 v27, v10, v27
	s_waitcnt lgkmcnt(1)
	v_mul_f32_e32 v51, v9, v33
	v_fma_f32 v42, v4, v42, -v46
	v_fmac_f32_e32 v49, v6, v22
	v_fma_f32 v22, v2, v38, -v45
	s_waitcnt vmcnt(1)
	v_mul_f32_e32 v50, v15, v24
	v_mul_f32_e32 v33, v8, v33
	v_fma_f32 v23, v6, v23, -v48
	v_fmac_f32_e32 v37, v38, v3
	v_fma_f32 v38, v0, v30, -v5
	v_fmac_f32_e32 v27, v28, v11
	v_fma_f32 v11, v8, v34, -v51
	v_add_f32_e32 v8, v22, v42
	v_mul_f32_e32 v29, v0, v29
	v_mul_f32_e32 v15, v15, v25
	v_mul_f32_e32 v52, v17, v39
	s_waitcnt vmcnt(0) lgkmcnt(0)
	v_mul_f32_e32 v54, v19, v43
	v_mul_f32_e32 v43, v18, v43
	v_fmac_f32_e32 v47, v4, v41
	v_fma_f32 v10, v10, v28, -v7
	v_fma_f32 v25, v14, v25, -v50
	v_fmac_f32_e32 v33, v34, v9
	v_add_f32_e32 v9, v38, v23
	v_mul_f32_e32 v41, 0xbf75a155, v8
	v_mul_f32_e32 v17, v17, v40
	;; [unrolled: 1-line block ×3, first 2 shown]
	v_fmac_f32_e32 v29, v30, v1
	v_fmac_f32_e32 v15, v14, v24
	v_fma_f32 v14, v16, v40, -v52
	v_fma_f32 v18, v18, v44, -v54
	v_fmac_f32_e32 v43, v44, v19
	v_sub_f32_e32 v24, v47, v37
	v_add_f32_e32 v19, v10, v25
	v_mul_f32_e32 v44, 0x3f575c64, v9
	v_mov_b32_e32 v0, v41
	v_mul_f32_e32 v31, v20, v31
	v_fmac_f32_e32 v17, v16, v39
	v_fma_f32 v16, v20, v32, -v53
	v_sub_f32_e32 v28, v49, v29
	v_add_f32_e32 v20, v11, v14
	v_mul_f32_e32 v45, 0xbf27a4f4, v19
	v_mov_b32_e32 v1, v44
	v_fmac_f32_e32 v0, 0x3e903f40, v24
	v_fmac_f32_e32 v31, v32, v21
	v_sub_f32_e32 v30, v15, v27
	v_add_f32_e32 v21, v16, v18
	v_sub_f32_e32 v40, v42, v22
	v_mul_f32_e32 v46, 0x3ed4b147, v20
	v_mov_b32_e32 v2, v45
	v_fmac_f32_e32 v1, 0xbf0a6770, v28
	v_add_f32_e32 v0, v0, v36
	v_sub_f32_e32 v32, v17, v33
	v_mul_f32_e32 v48, 0xbe11bafb, v21
	v_mul_f32_e32 v50, 0xbe903f40, v40
	v_mov_b32_e32 v3, v46
	v_fmac_f32_e32 v2, 0x3f4178ce, v30
	v_add_f32_e32 v0, v0, v1
	v_sub_f32_e32 v52, v23, v38
	v_sub_f32_e32 v34, v43, v31
	v_add_f32_e32 v39, v37, v47
	v_mov_b32_e32 v4, v48
	v_mov_b32_e32 v5, v50
	v_fmac_f32_e32 v3, 0xbf68dda4, v32
	v_add_f32_e32 v0, v0, v2
	v_mul_f32_e32 v53, 0x3f0a6770, v52
	v_fmac_f32_e32 v4, 0x3f7d64f0, v34
	v_fmac_f32_e32 v5, 0xbf75a155, v39
	v_add_f32_e32 v0, v0, v3
	v_add_f32_e32 v51, v29, v49
	v_mov_b32_e32 v2, v53
	v_sub_f32_e32 v55, v25, v10
	v_add_f32_e32 v1, v0, v4
	v_add_f32_e32 v0, v5, v35
	v_fmac_f32_e32 v2, 0x3f575c64, v51
	v_mul_f32_e32 v56, 0xbf4178ce, v55
	v_add_f32_e32 v0, v0, v2
	v_add_f32_e32 v54, v27, v15
	v_mov_b32_e32 v2, v56
	v_sub_f32_e32 v58, v14, v11
	v_fmac_f32_e32 v2, 0xbf27a4f4, v54
	v_mul_f32_e32 v59, 0x3f68dda4, v58
	v_add_f32_e32 v0, v0, v2
	v_add_f32_e32 v57, v33, v17
	v_mov_b32_e32 v2, v59
	v_sub_f32_e32 v61, v18, v16
	v_fmac_f32_e32 v2, 0x3ed4b147, v57
	v_mul_f32_e32 v62, 0xbf7d64f0, v61
	v_add_f32_e32 v0, v0, v2
	v_add_f32_e32 v60, v31, v43
	v_mov_b32_e32 v2, v62
	v_fmac_f32_e32 v2, 0xbe11bafb, v60
	v_mul_f32_e32 v63, 0xbf27a4f4, v8
	v_add_f32_e32 v0, v0, v2
	v_mov_b32_e32 v2, v63
	v_mul_f32_e32 v64, 0xbe11bafb, v9
	v_fmac_f32_e32 v2, 0x3f4178ce, v24
	v_mov_b32_e32 v3, v64
	v_add_f32_e32 v2, v2, v36
	v_fmac_f32_e32 v3, 0xbf7d64f0, v28
	v_mul_f32_e32 v65, 0x3f575c64, v19
	v_add_f32_e32 v2, v2, v3
	v_mov_b32_e32 v3, v65
	v_fmac_f32_e32 v3, 0x3f0a6770, v30
	v_mul_f32_e32 v66, 0xbf75a155, v20
	v_add_f32_e32 v2, v2, v3
	v_mov_b32_e32 v3, v66
	;; [unrolled: 4-line block ×3, first 2 shown]
	v_mul_f32_e32 v68, 0x3f7d64f0, v52
	v_fmac_f32_e32 v3, 0xbf27a4f4, v39
	v_mov_b32_e32 v4, v68
	v_add_f32_e32 v3, v3, v35
	v_fmac_f32_e32 v4, 0xbe11bafb, v51
	v_mul_f32_e32 v69, 0xbf0a6770, v55
	v_add_f32_e32 v3, v3, v4
	v_mov_b32_e32 v4, v69
	v_fmac_f32_e32 v4, 0x3f575c64, v54
	v_mul_f32_e32 v70, 0xbe903f40, v58
	v_add_f32_e32 v3, v3, v4
	v_mov_b32_e32 v4, v70
	;; [unrolled: 4-line block ×5, first 2 shown]
	v_mul_f32_e32 v74, 0xbf75a155, v9
	v_fmac_f32_e32 v4, 0x3f7d64f0, v24
	v_mov_b32_e32 v5, v74
	v_add_f32_e32 v4, v4, v36
	v_fmac_f32_e32 v5, 0xbe903f40, v28
	v_mul_f32_e32 v75, 0x3ed4b147, v19
	v_add_f32_e32 v4, v4, v5
	v_mov_b32_e32 v5, v75
	v_fmac_f32_e32 v5, 0xbf68dda4, v30
	v_mul_f32_e32 v76, 0x3f575c64, v20
	v_add_f32_e32 v4, v4, v5
	v_mov_b32_e32 v5, v76
	;; [unrolled: 4-line block ×3, first 2 shown]
	v_mul_f32_e32 v78, 0x3e903f40, v52
	v_fmac_f32_e32 v5, 0xbe11bafb, v39
	v_mov_b32_e32 v6, v78
	v_add_f32_e32 v5, v5, v35
	v_fmac_f32_e32 v6, 0xbf75a155, v51
	v_mul_f32_e32 v79, 0x3f68dda4, v55
	v_add_f32_e32 v5, v5, v6
	v_mov_b32_e32 v6, v79
	v_fmac_f32_e32 v6, 0x3ed4b147, v54
	v_mul_f32_e32 v80, 0xbf0a6770, v58
	v_add_f32_e32 v5, v5, v6
	v_mov_b32_e32 v6, v80
	;; [unrolled: 4-line block ×5, first 2 shown]
	v_mul_f32_e32 v84, 0xbf27a4f4, v9
	v_fmac_f32_e32 v6, 0x3f68dda4, v24
	v_mov_b32_e32 v7, v84
	v_add_f32_e32 v6, v6, v36
	v_fmac_f32_e32 v7, 0x3f4178ce, v28
	v_mul_f32_e32 v85, 0xbf75a155, v19
	v_add_f32_e32 v6, v6, v7
	v_mov_b32_e32 v7, v85
	v_fmac_f32_e32 v7, 0xbe903f40, v30
	v_mul_f32_e32 v86, 0xbe11bafb, v20
	v_add_f32_e32 v6, v6, v7
	v_mov_b32_e32 v7, v86
	v_fmac_f32_e32 v7, 0xbf7d64f0, v32
	v_mul_f32_e32 v87, 0xbf68dda4, v40
	v_add_f32_e32 v6, v6, v7
	v_mov_b32_e32 v7, v87
	v_mul_f32_e32 v88, 0xbf4178ce, v52
	v_fmac_f32_e32 v7, 0x3ed4b147, v39
	v_mov_b32_e32 v89, v88
	v_add_f32_e32 v7, v7, v35
	v_fmac_f32_e32 v89, 0xbf27a4f4, v51
	v_add_f32_e32 v7, v7, v89
	v_mul_f32_e32 v89, 0x3e903f40, v55
	v_mov_b32_e32 v90, v89
	v_fmac_f32_e32 v90, 0xbf75a155, v54
	v_add_f32_e32 v7, v7, v90
	v_mul_f32_e32 v90, 0x3f7d64f0, v58
	v_mov_b32_e32 v91, v90
	v_fmac_f32_e32 v91, 0xbe11bafb, v57
	v_mul_f32_e32 v92, 0x3f575c64, v21
	v_add_f32_e32 v91, v7, v91
	v_mov_b32_e32 v7, v92
	v_fmac_f32_e32 v7, 0xbf0a6770, v34
	v_mul_f32_e32 v93, 0x3f0a6770, v61
	v_add_f32_e32 v7, v6, v7
	v_mov_b32_e32 v6, v93
	v_fmac_f32_e32 v6, 0x3f575c64, v60
	v_add_f32_e32 v6, v91, v6
	v_mul_f32_e32 v91, 0x3f575c64, v8
	v_mov_b32_e32 v8, v91
	v_mul_f32_e32 v94, 0x3ed4b147, v9
	v_fmac_f32_e32 v8, 0x3f0a6770, v24
	v_mov_b32_e32 v9, v94
	v_add_f32_e32 v8, v8, v36
	v_fmac_f32_e32 v9, 0x3f68dda4, v28
	v_mul_f32_e32 v95, 0xbe11bafb, v19
	v_add_f32_e32 v8, v8, v9
	v_mov_b32_e32 v9, v95
	v_fmac_f32_e32 v9, 0x3f7d64f0, v30
	v_mul_f32_e32 v96, 0xbf27a4f4, v20
	v_add_f32_e32 v8, v8, v9
	v_mov_b32_e32 v9, v96
	;; [unrolled: 4-line block ×3, first 2 shown]
	v_mul_f32_e32 v52, 0xbf68dda4, v52
	v_fmac_f32_e32 v9, 0x3f575c64, v39
	v_mov_b32_e32 v19, v52
	v_add_f32_e32 v9, v9, v35
	v_fmac_f32_e32 v19, 0x3ed4b147, v51
	v_mul_f32_e32 v55, 0xbf7d64f0, v55
	v_add_f32_e32 v9, v9, v19
	v_mov_b32_e32 v19, v55
	v_fmac_f32_e32 v19, 0xbe11bafb, v54
	v_mul_f32_e32 v58, 0xbf4178ce, v58
	v_add_f32_e32 v9, v9, v19
	v_mov_b32_e32 v19, v58
	;; [unrolled: 4-line block ×4, first 2 shown]
	v_fmac_f32_e32 v8, 0xbf75a155, v60
	v_add_f32_e32 v8, v19, v8
	v_add_f32_e32 v19, v42, v36
	;; [unrolled: 1-line block ×19, first 2 shown]
	v_fmac_f32_e32 v41, 0xbe903f40, v24
	v_add_f32_e32 v11, v22, v10
	v_add_f32_e32 v10, v37, v14
	v_add_f32_e32 v14, v41, v36
	v_fmac_f32_e32 v44, 0x3f0a6770, v28
	v_fma_f32 v15, v39, s4, -v50
	v_add_f32_e32 v14, v14, v44
	v_fmac_f32_e32 v45, 0xbf4178ce, v30
	v_add_f32_e32 v15, v15, v35
	v_fma_f32 v16, v51, s0, -v53
	v_add_f32_e32 v14, v14, v45
	v_fmac_f32_e32 v46, 0x3f68dda4, v32
	v_add_f32_e32 v15, v15, v16
	v_fma_f32 v16, v54, s5, -v56
	v_add_f32_e32 v14, v14, v46
	v_add_f32_e32 v15, v15, v16
	v_fma_f32 v16, v57, s1, -v59
	v_fmac_f32_e32 v48, 0xbf7d64f0, v34
	v_add_f32_e32 v16, v15, v16
	v_add_f32_e32 v15, v14, v48
	v_fma_f32 v14, v60, s6, -v62
	v_fmac_f32_e32 v63, 0xbf4178ce, v24
	v_add_f32_e32 v14, v16, v14
	v_add_f32_e32 v16, v63, v36
	v_fmac_f32_e32 v64, 0x3f7d64f0, v28
	v_fma_f32 v17, v39, s5, -v67
	v_add_f32_e32 v16, v16, v64
	v_fmac_f32_e32 v65, 0xbf0a6770, v30
	v_add_f32_e32 v17, v17, v35
	v_fma_f32 v18, v51, s6, -v68
	v_add_f32_e32 v16, v16, v65
	v_fmac_f32_e32 v66, 0xbe903f40, v32
	v_add_f32_e32 v17, v17, v18
	v_fma_f32 v18, v54, s0, -v69
	v_add_f32_e32 v16, v16, v66
	v_add_f32_e32 v17, v17, v18
	v_fma_f32 v18, v57, s4, -v70
	v_fmac_f32_e32 v71, 0x3f68dda4, v34
	v_add_f32_e32 v18, v17, v18
	v_add_f32_e32 v17, v16, v71
	v_fma_f32 v16, v60, s1, -v72
	v_fmac_f32_e32 v73, 0xbf7d64f0, v24
	v_add_f32_e32 v16, v18, v16
	v_add_f32_e32 v18, v73, v36
	v_fmac_f32_e32 v74, 0x3e903f40, v28
	v_add_f32_e32 v18, v18, v74
	v_fmac_f32_e32 v75, 0x3f68dda4, v30
	;; [unrolled: 2-line block ×4, first 2 shown]
	v_add_f32_e32 v19, v18, v81
	v_fma_f32 v18, v39, s6, -v77
	v_add_f32_e32 v18, v18, v35
	v_fma_f32 v20, v51, s4, -v78
	;; [unrolled: 2-line block ×5, first 2 shown]
	v_fmac_f32_e32 v83, 0xbf68dda4, v24
	v_add_f32_e32 v18, v18, v20
	v_add_f32_e32 v20, v83, v36
	v_fmac_f32_e32 v84, 0xbf4178ce, v28
	v_add_f32_e32 v20, v20, v84
	v_fmac_f32_e32 v85, 0x3e903f40, v30
	;; [unrolled: 2-line block ×4, first 2 shown]
	v_add_f32_e32 v21, v20, v92
	v_fma_f32 v20, v39, s1, -v87
	v_add_f32_e32 v20, v20, v35
	v_fma_f32 v22, v51, s5, -v88
	;; [unrolled: 2-line block ×5, first 2 shown]
	v_fmac_f32_e32 v91, 0xbf0a6770, v24
	v_add_f32_e32 v20, v20, v22
	v_add_f32_e32 v22, v91, v36
	v_fmac_f32_e32 v94, 0xbf68dda4, v28
	v_add_f32_e32 v22, v22, v94
	v_fmac_f32_e32 v95, 0xbf7d64f0, v30
	;; [unrolled: 2-line block ×4, first 2 shown]
	v_add_f32_e32 v23, v22, v97
	v_fma_f32 v22, v39, s0, -v40
	v_add_f32_e32 v22, v22, v35
	v_fma_f32 v24, v51, s1, -v52
	v_add_f32_e32 v22, v22, v24
	v_mad_u64_u32 v[24:25], s[0:1], s2, v26, 0
	v_fma_f32 v27, v54, s6, -v55
	v_add_f32_e32 v29, v22, v27
	v_mov_b32_e32 v22, v25
	v_mad_u64_u32 v[27:28], s[0:1], s3, v26, v[22:23]
	v_fma_f32 v30, v57, s5, -v58
	v_add_f32_e32 v22, v29, v30
	v_fma_f32 v25, v60, s4, -v61
	v_add_f32_e32 v22, v22, v25
	v_mov_b32_e32 v25, v27
	v_mov_b32_e32 v27, s13
	v_add_co_u32_e32 v30, vcc, s12, v12
	v_addc_co_u32_e32 v31, vcc, v27, v13, vcc
	v_add_u32_e32 v27, 0x42, v26
	v_lshlrev_b64 v[12:13], 3, v[24:25]
	v_mad_u64_u32 v[24:25], s[0:1], s2, v27, 0
	v_add_u32_e32 v32, 0x84, v26
	v_add_co_u32_e32 v12, vcc, v30, v12
	v_mad_u64_u32 v[27:28], s[0:1], s3, v27, v[25:26]
	v_mad_u64_u32 v[28:29], s[0:1], s2, v32, 0
	v_addc_co_u32_e32 v13, vcc, v31, v13, vcc
	global_store_dwordx2 v[12:13], v[10:11], off
	v_mov_b32_e32 v12, v29
	v_mov_b32_e32 v25, v27
	v_mad_u64_u32 v[12:13], s[0:1], s3, v32, v[12:13]
	v_lshlrev_b64 v[10:11], 3, v[24:25]
	v_add_u32_e32 v24, 0x108, v26
	v_add_co_u32_e32 v10, vcc, v30, v10
	v_addc_co_u32_e32 v11, vcc, v31, v11, vcc
	v_mov_b32_e32 v29, v12
	v_add_u32_e32 v12, 0xc6, v26
	global_store_dwordx2 v[10:11], v[8:9], off
	v_mad_u64_u32 v[10:11], s[0:1], s2, v12, 0
	v_lshlrev_b64 v[8:9], 3, v[28:29]
	v_mad_u64_u32 v[11:12], s[0:1], s3, v12, v[11:12]
	v_mad_u64_u32 v[12:13], s[0:1], s2, v24, 0
	v_add_co_u32_e32 v8, vcc, v30, v8
	v_addc_co_u32_e32 v9, vcc, v31, v9, vcc
	global_store_dwordx2 v[8:9], v[6:7], off
	v_mov_b32_e32 v8, v13
	v_mad_u64_u32 v[8:9], s[0:1], s3, v24, v[8:9]
	v_lshlrev_b64 v[6:7], 3, v[10:11]
	v_add_u32_e32 v10, 0x18c, v26
	v_add_co_u32_e32 v6, vcc, v30, v6
	v_addc_co_u32_e32 v7, vcc, v31, v7, vcc
	v_mov_b32_e32 v13, v8
	v_add_u32_e32 v8, 0x14a, v26
	global_store_dwordx2 v[6:7], v[4:5], off
	v_mad_u64_u32 v[6:7], s[0:1], s2, v8, 0
	v_lshlrev_b64 v[4:5], 3, v[12:13]
	v_mad_u64_u32 v[7:8], s[0:1], s3, v8, v[7:8]
	v_mad_u64_u32 v[8:9], s[0:1], s2, v10, 0
	v_add_co_u32_e32 v4, vcc, v30, v4
	v_addc_co_u32_e32 v5, vcc, v31, v5, vcc
	global_store_dwordx2 v[4:5], v[2:3], off
	;; [unrolled: 16-line block ×3, first 2 shown]
	v_lshlrev_b64 v[0:1], 3, v[2:3]
	v_mov_b32_e32 v2, v5
	v_mad_u64_u32 v[2:3], s[0:1], s3, v6, v[2:3]
	v_add_co_u32_e32 v0, vcc, v30, v0
	v_addc_co_u32_e32 v1, vcc, v31, v1, vcc
	v_mov_b32_e32 v5, v2
	global_store_dwordx2 v[0:1], v[16:17], off
	v_lshlrev_b64 v[0:1], 3, v[4:5]
	v_add_u32_e32 v4, 0x252, v26
	v_mad_u64_u32 v[2:3], s[0:1], s2, v4, 0
	v_add_u32_e32 v6, 0x294, v26
	v_add_co_u32_e32 v0, vcc, v30, v0
	v_mad_u64_u32 v[3:4], s[0:1], s3, v4, v[3:4]
	v_mad_u64_u32 v[4:5], s[0:1], s2, v6, 0
	v_addc_co_u32_e32 v1, vcc, v31, v1, vcc
	global_store_dwordx2 v[0:1], v[18:19], off
	v_lshlrev_b64 v[0:1], 3, v[2:3]
	v_mov_b32_e32 v2, v5
	v_mad_u64_u32 v[2:3], s[0:1], s3, v6, v[2:3]
	v_add_co_u32_e32 v0, vcc, v30, v0
	v_addc_co_u32_e32 v1, vcc, v31, v1, vcc
	v_mov_b32_e32 v5, v2
	global_store_dwordx2 v[0:1], v[20:21], off
	v_lshlrev_b64 v[0:1], 3, v[4:5]
	v_add_co_u32_e32 v0, vcc, v30, v0
	v_addc_co_u32_e32 v1, vcc, v31, v1, vcc
	global_store_dwordx2 v[0:1], v[22:23], off
.LBB0_19:
	s_endpgm
	.section	.rodata,"a",@progbits
	.p2align	6, 0x0
	.amdhsa_kernel fft_rtc_back_len726_factors_11_6_11_wgs_132_tpt_66_sp_ip_CI_sbrr_dirReg
		.amdhsa_group_segment_fixed_size 0
		.amdhsa_private_segment_fixed_size 0
		.amdhsa_kernarg_size 88
		.amdhsa_user_sgpr_count 6
		.amdhsa_user_sgpr_private_segment_buffer 1
		.amdhsa_user_sgpr_dispatch_ptr 0
		.amdhsa_user_sgpr_queue_ptr 0
		.amdhsa_user_sgpr_kernarg_segment_ptr 1
		.amdhsa_user_sgpr_dispatch_id 0
		.amdhsa_user_sgpr_flat_scratch_init 0
		.amdhsa_user_sgpr_private_segment_size 0
		.amdhsa_uses_dynamic_stack 0
		.amdhsa_system_sgpr_private_segment_wavefront_offset 0
		.amdhsa_system_sgpr_workgroup_id_x 1
		.amdhsa_system_sgpr_workgroup_id_y 0
		.amdhsa_system_sgpr_workgroup_id_z 0
		.amdhsa_system_sgpr_workgroup_info 0
		.amdhsa_system_vgpr_workitem_id 0
		.amdhsa_next_free_vgpr 98
		.amdhsa_next_free_sgpr 24
		.amdhsa_reserve_vcc 1
		.amdhsa_reserve_flat_scratch 0
		.amdhsa_float_round_mode_32 0
		.amdhsa_float_round_mode_16_64 0
		.amdhsa_float_denorm_mode_32 3
		.amdhsa_float_denorm_mode_16_64 3
		.amdhsa_dx10_clamp 1
		.amdhsa_ieee_mode 1
		.amdhsa_fp16_overflow 0
		.amdhsa_exception_fp_ieee_invalid_op 0
		.amdhsa_exception_fp_denorm_src 0
		.amdhsa_exception_fp_ieee_div_zero 0
		.amdhsa_exception_fp_ieee_overflow 0
		.amdhsa_exception_fp_ieee_underflow 0
		.amdhsa_exception_fp_ieee_inexact 0
		.amdhsa_exception_int_div_zero 0
	.end_amdhsa_kernel
	.text
.Lfunc_end0:
	.size	fft_rtc_back_len726_factors_11_6_11_wgs_132_tpt_66_sp_ip_CI_sbrr_dirReg, .Lfunc_end0-fft_rtc_back_len726_factors_11_6_11_wgs_132_tpt_66_sp_ip_CI_sbrr_dirReg
                                        ; -- End function
	.section	.AMDGPU.csdata,"",@progbits
; Kernel info:
; codeLenInByte = 8104
; NumSgprs: 28
; NumVgprs: 98
; ScratchSize: 0
; MemoryBound: 0
; FloatMode: 240
; IeeeMode: 1
; LDSByteSize: 0 bytes/workgroup (compile time only)
; SGPRBlocks: 3
; VGPRBlocks: 24
; NumSGPRsForWavesPerEU: 28
; NumVGPRsForWavesPerEU: 98
; Occupancy: 2
; WaveLimiterHint : 1
; COMPUTE_PGM_RSRC2:SCRATCH_EN: 0
; COMPUTE_PGM_RSRC2:USER_SGPR: 6
; COMPUTE_PGM_RSRC2:TRAP_HANDLER: 0
; COMPUTE_PGM_RSRC2:TGID_X_EN: 1
; COMPUTE_PGM_RSRC2:TGID_Y_EN: 0
; COMPUTE_PGM_RSRC2:TGID_Z_EN: 0
; COMPUTE_PGM_RSRC2:TIDIG_COMP_CNT: 0
	.type	__hip_cuid_d4d0df4966c29d40,@object ; @__hip_cuid_d4d0df4966c29d40
	.section	.bss,"aw",@nobits
	.globl	__hip_cuid_d4d0df4966c29d40
__hip_cuid_d4d0df4966c29d40:
	.byte	0                               ; 0x0
	.size	__hip_cuid_d4d0df4966c29d40, 1

	.ident	"AMD clang version 19.0.0git (https://github.com/RadeonOpenCompute/llvm-project roc-6.4.0 25133 c7fe45cf4b819c5991fe208aaa96edf142730f1d)"
	.section	".note.GNU-stack","",@progbits
	.addrsig
	.addrsig_sym __hip_cuid_d4d0df4966c29d40
	.amdgpu_metadata
---
amdhsa.kernels:
  - .args:
      - .actual_access:  read_only
        .address_space:  global
        .offset:         0
        .size:           8
        .value_kind:     global_buffer
      - .offset:         8
        .size:           8
        .value_kind:     by_value
      - .actual_access:  read_only
        .address_space:  global
        .offset:         16
        .size:           8
        .value_kind:     global_buffer
      - .actual_access:  read_only
        .address_space:  global
        .offset:         24
        .size:           8
        .value_kind:     global_buffer
      - .offset:         32
        .size:           8
        .value_kind:     by_value
      - .actual_access:  read_only
        .address_space:  global
        .offset:         40
        .size:           8
        .value_kind:     global_buffer
      - .actual_access:  read_only
        .address_space:  global
        .offset:         48
        .size:           8
        .value_kind:     global_buffer
      - .offset:         56
        .size:           4
        .value_kind:     by_value
      - .actual_access:  read_only
        .address_space:  global
        .offset:         64
        .size:           8
        .value_kind:     global_buffer
      - .actual_access:  read_only
        .address_space:  global
        .offset:         72
        .size:           8
        .value_kind:     global_buffer
      - .address_space:  global
        .offset:         80
        .size:           8
        .value_kind:     global_buffer
    .group_segment_fixed_size: 0
    .kernarg_segment_align: 8
    .kernarg_segment_size: 88
    .language:       OpenCL C
    .language_version:
      - 2
      - 0
    .max_flat_workgroup_size: 132
    .name:           fft_rtc_back_len726_factors_11_6_11_wgs_132_tpt_66_sp_ip_CI_sbrr_dirReg
    .private_segment_fixed_size: 0
    .sgpr_count:     28
    .sgpr_spill_count: 0
    .symbol:         fft_rtc_back_len726_factors_11_6_11_wgs_132_tpt_66_sp_ip_CI_sbrr_dirReg.kd
    .uniform_work_group_size: 1
    .uses_dynamic_stack: false
    .vgpr_count:     98
    .vgpr_spill_count: 0
    .wavefront_size: 64
amdhsa.target:   amdgcn-amd-amdhsa--gfx906
amdhsa.version:
  - 1
  - 2
...

	.end_amdgpu_metadata
